;; amdgpu-corpus repo=FlagOpen/FlagGems kind=triton arch=gfx950 opt=O3 lang=triton
	.amdgcn_target "amdgcn-amd-amdhsa--gfx950"
	.amdhsa_code_object_version 5
	.text
	.globl	logsumexp_kernel_inner          ; -- Begin function logsumexp_kernel_inner
	.p2align	8
	.type	logsumexp_kernel_inner,@function
logsumexp_kernel_inner:                 ; @logsumexp_kernel_inner
.Lfunc_begin0:
	.cfi_sections .debug_frame
	.cfi_startproc
; %bb.23:
	.file	1 "/root/src/amdgpu-assembly/repos/FlagOpen__FlagGems/triton_aot_kernels" "logsumexp_aot.py"
	.loc	1 8 0 prologue_end              ; logsumexp_aot.py:8:0
	s_load_dwordx2 s[2:3], s[0:1], 0x0
	s_load_dwordx8 s[4:11], s[0:1], 0x8
	s_waitcnt lgkmcnt(0)
	s_branch .LBB0_0
	.loc	1 0 0 is_stmt 0                 ; :0:0
.Ltmp0:
	.p2align	8
; %bb.24:
.LBB0_0:
.Ltmp1:
	.loc	1 33 30 is_stmt 1               ; logsumexp_aot.py:33:30
	v_readfirstlane_b32 s13, v0
	.loc	1 19 33                         ; logsumexp_aot.py:19:33
	v_and_b32_e32 v1, 63, v0
	s_and_b32 s0, s13, 0xc0
	v_or_b32_e32 v4, s0, v1
	.loc	1 23 22                         ; logsumexp_aot.py:23:22
	v_mov_b32_e32 v2, 0xff800000
	.loc	1 20 25                         ; logsumexp_aot.py:20:25
	s_mul_i32 s6, s7, s12
	.loc	1 22 27                         ; logsumexp_aot.py:22:27
	v_cmp_gt_i32_e32 vcc, s7, v4
	v_mov_b32_e32 v3, v2
	.loc	1 23 22                         ; logsumexp_aot.py:23:22
	s_and_saveexec_b64 s[0:1], vcc
	s_cbranch_execz .LBB0_2
; %bb.1:
	.loc	1 0 22 is_stmt 0                ; logsumexp_aot.py:0:22
	v_add_u32_e32 v6, s6, v4
	v_ashrrev_i32_e32 v7, 31, v6
	v_lshl_add_u64 v[6:7], v[6:7], 2, s[4:5]
	.loc	1 23 22                         ; logsumexp_aot.py:23:22
	global_load_dword v3, v[6:7], off
.LBB0_2:
	.loc	1 0 22                          ; logsumexp_aot.py:0:22
	s_or_b64 exec, exec, s[0:1]
	.loc	1 19 33 is_stmt 1               ; logsumexp_aot.py:19:33
	v_or_b32_e32 v5, 0x100, v4
	.loc	1 22 27                         ; logsumexp_aot.py:22:27
	v_cmp_gt_i32_e32 vcc, s7, v5
	.loc	1 23 22                         ; logsumexp_aot.py:23:22
	s_and_saveexec_b64 s[0:1], vcc
	s_cbranch_execz .LBB0_4
; %bb.3:
	.loc	1 20 29                         ; logsumexp_aot.py:20:29
	v_add_u32_e32 v6, s6, v5
	.loc	1 21 33                         ; logsumexp_aot.py:21:33
	v_ashrrev_i32_e32 v7, 31, v6
	v_lshl_add_u64 v[6:7], v[6:7], 2, s[4:5]
	.loc	1 23 22                         ; logsumexp_aot.py:23:22
	global_load_dword v2, v[6:7], off
.LBB0_4:
	.loc	1 0 22 is_stmt 0                ; logsumexp_aot.py:0:22
	s_or_b64 exec, exec, s[0:1]
	.loc	1 19 33 is_stmt 1               ; logsumexp_aot.py:19:33
	v_or_b32_e32 v7, 0x200, v4
	.loc	1 23 22                         ; logsumexp_aot.py:23:22
	v_mov_b32_e32 v5, 0xff800000
	.loc	1 22 27                         ; logsumexp_aot.py:22:27
	v_cmp_gt_i32_e32 vcc, s7, v7
	v_mov_b32_e32 v6, v5
	.loc	1 23 22                         ; logsumexp_aot.py:23:22
	s_and_saveexec_b64 s[0:1], vcc
	s_cbranch_execz .LBB0_6
; %bb.5:
	.loc	1 20 29                         ; logsumexp_aot.py:20:29
	v_add_u32_e32 v6, s6, v7
	.loc	1 21 33                         ; logsumexp_aot.py:21:33
	v_ashrrev_i32_e32 v7, 31, v6
	v_lshl_add_u64 v[6:7], v[6:7], 2, s[4:5]
	.loc	1 23 22                         ; logsumexp_aot.py:23:22
	global_load_dword v6, v[6:7], off
.LBB0_6:
	.loc	1 0 22 is_stmt 0                ; logsumexp_aot.py:0:22
	s_or_b64 exec, exec, s[0:1]
	.loc	1 19 33 is_stmt 1               ; logsumexp_aot.py:19:33
	v_or_b32_e32 v4, 0x300, v4
	.loc	1 22 27                         ; logsumexp_aot.py:22:27
	v_cmp_gt_i32_e32 vcc, s7, v4
	.loc	1 23 22                         ; logsumexp_aot.py:23:22
	s_and_saveexec_b64 s[0:1], vcc
	s_cbranch_execz .LBB0_8
; %bb.7:
	.loc	1 20 29                         ; logsumexp_aot.py:20:29
	v_add_u32_e32 v4, s6, v4
	.loc	1 21 33                         ; logsumexp_aot.py:21:33
	v_ashrrev_i32_e32 v5, 31, v4
	v_lshl_add_u64 v[4:5], v[4:5], 2, s[4:5]
	.loc	1 23 22                         ; logsumexp_aot.py:23:22
	global_load_dword v5, v[4:5], off
.LBB0_8:
	.loc	1 0 22 is_stmt 0                ; logsumexp_aot.py:0:22
	s_or_b64 exec, exec, s[0:1]
.Ltmp2:
	.file	2 "/root/.local/lib/python3.13/site-packages/triton/language" "standard.py"
	.loc	2 170 27 is_stmt 1              ; standard.py:170:27 @[ standard.py:191:40 @[ logsumexp_aot.py:24:19 ] ]
	s_waitcnt vmcnt(0)
	v_max_f32_e32 v4, v2, v2
	v_max_f32_e32 v7, v3, v3
	;; [unrolled: 1-line block ×3, first 2 shown]
	v_max3_f32 v4, v4, v6, v5
.Ltmp3:
	.loc	2 191 40                        ; standard.py:191:40 @[ logsumexp_aot.py:24:19 ]
	s_lshr_b32 s4, s13, 4
	s_and_b32 s4, s4, 12
	v_mov_b32_dpp v7, v4 row_shr:8 row_mask:0xf bank_mask:0xf bound_ctrl:1
.Ltmp4:
	.loc	2 170 27                        ; standard.py:170:27 @[ standard.py:191:40 @[ logsumexp_aot.py:24:19 ] ]
	v_max_f32_e32 v7, v7, v7
	v_max_f32_e32 v4, v4, v7
.Ltmp5:
	.loc	2 191 40                        ; standard.py:191:40 @[ logsumexp_aot.py:24:19 ]
	v_cmp_eq_u32_e64 s[0:1], 0, v1
	s_add_i32 s14, s4, 0
	v_mov_b32_dpp v7, v4 row_shr:4 row_mask:0xf bank_mask:0xf bound_ctrl:1
.Ltmp6:
	.loc	2 170 27                        ; standard.py:170:27 @[ standard.py:191:40 @[ logsumexp_aot.py:24:19 ] ]
	v_max_f32_e32 v7, v7, v7
	v_max_f32_e32 v4, v4, v7
.Ltmp7:
	.loc	2 191 40                        ; standard.py:191:40 @[ logsumexp_aot.py:24:19 ]
	s_nop 1
	v_mov_b32_dpp v7, v4 row_shr:2 row_mask:0xf bank_mask:0xf bound_ctrl:1
.Ltmp8:
	.loc	2 170 27                        ; standard.py:170:27 @[ standard.py:191:40 @[ logsumexp_aot.py:24:19 ] ]
	v_max_f32_e32 v7, v7, v7
	v_max_f32_e32 v4, v4, v7
.Ltmp9:
	.loc	2 191 40                        ; standard.py:191:40 @[ logsumexp_aot.py:24:19 ]
	s_nop 1
	v_mov_b32_dpp v7, v4 row_shr:1 row_mask:0xf bank_mask:0xf bound_ctrl:1
.Ltmp10:
	.loc	2 170 27                        ; standard.py:170:27 @[ standard.py:191:40 @[ logsumexp_aot.py:24:19 ] ]
	v_max_f32_e32 v7, v7, v7
	v_max_f32_e32 v4, v4, v7
.Ltmp11:
	.loc	2 191 40                        ; standard.py:191:40 @[ logsumexp_aot.py:24:19 ]
	v_mov_b32_e32 v7, v4
	s_nop 1
	v_mov_b32_dpp v7, v7 row_bcast:15 row_mask:0xa bank_mask:0xf bound_ctrl:1
.Ltmp12:
	.loc	2 170 27                        ; standard.py:170:27 @[ standard.py:191:40 @[ logsumexp_aot.py:24:19 ] ]
	v_max_f32_e32 v7, v7, v7
	v_max_f32_e32 v4, v4, v7
.Ltmp13:
	.loc	2 191 40                        ; standard.py:191:40 @[ logsumexp_aot.py:24:19 ]
	s_nop 1
	v_mov_b32_dpp v7, v4 row_bcast:31 row_mask:0xf bank_mask:0xf bound_ctrl:1
.Ltmp14:
	.loc	2 170 27                        ; standard.py:170:27 @[ standard.py:191:40 @[ logsumexp_aot.py:24:19 ] ]
	v_max_f32_e32 v7, v7, v7
	v_max_f32_e32 v4, v4, v7
.Ltmp15:
	.loc	2 191 40                        ; standard.py:191:40 @[ logsumexp_aot.py:24:19 ]
	s_nop 0
	v_readlane_b32 s6, v4, 63
	s_and_saveexec_b64 s[4:5], s[0:1]
; %bb.9:
	v_mov_b32_e32 v4, s14
	v_mov_b32_e32 v7, s6
	ds_write_b32 v4, v7
; %bb.10:
	.loc	2 0 40 is_stmt 0                ; standard.py:0:40
	s_or_b64 exec, exec, s[4:5]
	.loc	2 191 40                        ; standard.py:191:40 @[ logsumexp_aot.py:24:19 ]
	v_cmp_gt_u32_e64 s[4:5], 4, v0
	v_lshl_add_u32 v4, v0, 2, 0
.Ltmp16:
	.loc	1 24 19 is_stmt 1               ; logsumexp_aot.py:24:19
	v_mov_b32_e32 v7, 0
.Ltmp17:
	.loc	2 191 40                        ; standard.py:191:40 @[ logsumexp_aot.py:24:19 ]
	s_waitcnt lgkmcnt(0)
	s_barrier
	s_and_saveexec_b64 s[6:7], s[4:5]
; %bb.11:
	ds_read_b32 v7, v4
; %bb.12:
	.loc	2 0 40 is_stmt 0                ; standard.py:0:40
	s_or_b64 exec, exec, s[6:7]
.Ltmp18:
	.loc	2 170 27 is_stmt 1              ; standard.py:170:27 @[ standard.py:191:40 @[ logsumexp_aot.py:24:19 ] ]
	s_waitcnt lgkmcnt(0)
	v_max_f32_e32 v8, v7, v7
.Ltmp19:
	.loc	2 191 40                        ; standard.py:191:40 @[ logsumexp_aot.py:24:19 ]
	v_mov_b32_dpp v7, v7 quad_perm:[2,3,0,1] row_mask:0xf bank_mask:0xf
.Ltmp20:
	.loc	2 170 27                        ; standard.py:170:27 @[ standard.py:191:40 @[ logsumexp_aot.py:24:19 ] ]
	v_max_f32_e32 v7, v7, v7
	v_max_f32_e32 v7, v8, v7
.Ltmp21:
	.loc	2 191 40                        ; standard.py:191:40 @[ logsumexp_aot.py:24:19 ]
	v_and_b32_e32 v0, 3, v0
	v_mov_b32_e32 v8, v7
	v_cmp_eq_u32_e32 vcc, 0, v0
	s_and_b64 s[10:11], s[4:5], vcc
	v_mov_b32_dpp v8, v8 quad_perm:[1,0,3,2] row_mask:0xf bank_mask:0xf
	s_and_saveexec_b64 s[6:7], s[10:11]
; %bb.13:
	.loc	2 0 40 is_stmt 0                ; standard.py:0:40
	v_max_f32_e32 v0, v8, v8
	v_max_f32_e32 v7, v7, v7
	;; [unrolled: 1-line block ×3, first 2 shown]
	.loc	2 191 40                        ; standard.py:191:40 @[ logsumexp_aot.py:24:19 ]
	ds_write_b32 v4, v0
; %bb.14:
	.loc	2 0 40                          ; standard.py:0:40
	s_or_b64 exec, exec, s[6:7]
	.loc	2 191 40                        ; standard.py:191:40 @[ logsumexp_aot.py:24:19 ]
	v_mov_b32_e32 v0, 0
	s_waitcnt lgkmcnt(0)
	s_barrier
	ds_read_b32 v0, v0
	s_mov_b32 s6, 0xff800000
	s_mov_b32 s15, 0xc2fc0000
.Ltmp22:
	.loc	1 27 19 is_stmt 1               ; logsumexp_aot.py:27:19
	v_mov_b32_e32 v8, 0x42800000
.Ltmp23:
	.loc	2 293 36                        ; standard.py:293:36 @[ logsumexp_aot.py:28:19 ]
	s_waitcnt lgkmcnt(0)
.Ltmp24:
	.loc	1 26 31                         ; logsumexp_aot.py:26:31
	v_cmp_eq_f32_e32 vcc, s6, v0
.Ltmp25:
	.loc	2 293 36                        ; standard.py:293:36 @[ logsumexp_aot.py:28:19 ]
	s_barrier
.Ltmp26:
	.loc	1 26 51                         ; logsumexp_aot.py:26:51
	s_nop 0
	v_cndmask_b32_e64 v7, v0, 0, vcc
	.loc	1 27 25                         ; logsumexp_aot.py:27:25
	v_sub_f32_e32 v3, v3, v7
	v_sub_f32_e32 v2, v2, v7
	;; [unrolled: 1-line block ×4, first 2 shown]
	.loc	1 27 19 is_stmt 0               ; logsumexp_aot.py:27:19
	v_mul_f32_e32 v7, 0x3fb8aa3b, v3
	v_cmp_gt_f32_e64 s[6:7], s15, v7
	v_mul_f32_e32 v9, 0x3fb8aa3b, v2
	v_cmp_gt_f32_e64 s[8:9], s15, v9
	v_cndmask_b32_e64 v7, 0, v8, s[6:7]
	v_fmac_f32_e32 v7, 0x3fb8aa3b, v3
	v_cndmask_b32_e64 v9, 0, v8, s[8:9]
	v_exp_f32_e32 v3, v7
	v_fmac_f32_e32 v9, 0x3fb8aa3b, v2
	v_exp_f32_e32 v2, v9
	v_not_b32_e32 v7, 63
	v_cndmask_b32_e64 v9, 0, v7, s[6:7]
	v_ldexp_f32 v3, v3, v9
	v_cndmask_b32_e64 v9, 0, v7, s[8:9]
	v_ldexp_f32 v2, v2, v9
	v_mul_f32_e32 v9, 0x3fb8aa3b, v6
	v_cmp_gt_f32_e64 s[6:7], s15, v9
.Ltmp27:
	.loc	2 263 15 is_stmt 1              ; standard.py:263:15 @[ standard.py:293:36 @[ logsumexp_aot.py:28:19 ] ]
	v_add_f32_e32 v2, v3, v2
.Ltmp28:
	.loc	1 27 19                         ; logsumexp_aot.py:27:19
	s_nop 0
	v_cndmask_b32_e64 v9, 0, v8, s[6:7]
	v_fmac_f32_e32 v9, 0x3fb8aa3b, v6
	v_exp_f32_e32 v6, v9
	v_mul_f32_e32 v9, 0x3fb8aa3b, v5
	v_cmp_gt_f32_e64 s[8:9], s15, v9
	s_nop 1
	v_cndmask_b32_e64 v8, 0, v8, s[8:9]
	v_fmac_f32_e32 v8, 0x3fb8aa3b, v5
	v_exp_f32_e32 v5, v8
	v_cndmask_b32_e64 v8, 0, v7, s[6:7]
	v_ldexp_f32 v6, v6, v8
	v_cndmask_b32_e64 v7, 0, v7, s[8:9]
	v_ldexp_f32 v5, v5, v7
.Ltmp29:
	.loc	2 263 15                        ; standard.py:263:15 @[ standard.py:293:36 @[ logsumexp_aot.py:28:19 ] ]
	v_add_f32_e32 v2, v6, v2
	v_add_f32_e32 v2, v5, v2
	s_nop 1
	v_add_f32_dpp v2, v2, v2 row_shr:8 row_mask:0xf bank_mask:0xf bound_ctrl:1
	s_nop 1
	v_add_f32_dpp v2, v2, v2 row_shr:4 row_mask:0xf bank_mask:0xf bound_ctrl:1
	;; [unrolled: 2-line block ×4, first 2 shown]
.Ltmp30:
	.loc	2 293 36                        ; standard.py:293:36 @[ logsumexp_aot.py:28:19 ]
	v_mov_b32_e32 v3, v2
	s_nop 1
	v_mov_b32_dpp v3, v3 row_bcast:15 row_mask:0xa bank_mask:0xf bound_ctrl:1
.Ltmp31:
	.loc	2 263 15                        ; standard.py:263:15 @[ standard.py:293:36 @[ logsumexp_aot.py:28:19 ] ]
	v_add_f32_e32 v2, v3, v2
	s_nop 1
	v_add_f32_dpp v2, v2, v2 row_bcast:31 row_mask:0xf bank_mask:0xf bound_ctrl:1
.Ltmp32:
	.loc	2 293 36                        ; standard.py:293:36 @[ logsumexp_aot.py:28:19 ]
	s_nop 0
	v_readlane_b32 s8, v2, 63
	s_and_saveexec_b64 s[6:7], s[0:1]
; %bb.15:
	v_mov_b32_e32 v2, s14
	v_mov_b32_e32 v3, s8
	ds_write_b32 v2, v3
.Ltmp33:
; %bb.16:
	.loc	2 0 36 is_stmt 0                ; standard.py:0:36
	s_or_b64 exec, exec, s[6:7]
	.loc	1 28 19 is_stmt 1               ; logsumexp_aot.py:28:19
	v_mov_b32_e32 v2, 0
.Ltmp34:
	.loc	2 293 36                        ; standard.py:293:36 @[ logsumexp_aot.py:28:19 ]
	s_waitcnt lgkmcnt(0)
	s_barrier
	s_and_saveexec_b64 s[0:1], s[4:5]
; %bb.17:
	ds_read_b32 v2, v4
; %bb.18:
	.loc	2 0 36 is_stmt 0                ; standard.py:0:36
	s_or_b64 exec, exec, s[0:1]
	.loc	2 293 36                        ; standard.py:293:36 @[ logsumexp_aot.py:28:19 ]
	s_waitcnt lgkmcnt(0)
	v_mov_b32_e32 v3, v2
	s_nop 1
	v_mov_b32_dpp v3, v3 quad_perm:[2,3,0,1] row_mask:0xf bank_mask:0xf
.Ltmp35:
	.loc	2 263 15 is_stmt 1              ; standard.py:263:15 @[ standard.py:293:36 @[ logsumexp_aot.py:28:19 ] ]
	v_add_f32_e32 v2, v2, v3
.Ltmp36:
	.loc	2 293 36                        ; standard.py:293:36 @[ logsumexp_aot.py:28:19 ]
	v_mov_b32_e32 v3, v2
	s_nop 1
	v_mov_b32_dpp v3, v3 quad_perm:[1,0,3,2] row_mask:0xf bank_mask:0xf
	s_and_saveexec_b64 s[0:1], s[10:11]
; %bb.19:
	.loc	2 0 36 is_stmt 0                ; standard.py:0:36
	v_add_f32_e32 v2, v2, v3
	.loc	2 293 36                        ; standard.py:293:36 @[ logsumexp_aot.py:28:19 ]
	ds_write_b32 v4, v2
.Ltmp37:
; %bb.20:
	.loc	2 0 36                          ; standard.py:0:36
	s_or_b64 exec, exec, s[0:1]
	.loc	1 33 30 is_stmt 1               ; logsumexp_aot.py:33:30
	s_lshr_b32 s0, s13, 6
	v_or_b32_e32 v1, s0, v1
	v_cmp_eq_u32_e64 s[0:1], 0, v1
.Ltmp38:
	.loc	2 293 36                        ; standard.py:293:36 @[ logsumexp_aot.py:28:19 ]
	s_waitcnt lgkmcnt(0)
	s_barrier
.Ltmp39:
	.loc	1 33 30                         ; logsumexp_aot.py:33:30
	s_and_saveexec_b64 s[4:5], s[0:1]
	s_cbranch_execz .LBB0_22
; %bb.21:
.Ltmp40:
	.loc	2 293 36                        ; standard.py:293:36 @[ logsumexp_aot.py:28:19 ]
	v_mov_b32_e32 v1, 0
	ds_read_b32 v2, v1
	s_mov_b32 s0, 0x800000
.Ltmp41:
	.loc	1 29 30                         ; logsumexp_aot.py:29:30
	v_mov_b32_e32 v3, 0x41b17218
	.loc	1 31 46                         ; logsumexp_aot.py:31:46
	v_mov_b32_e32 v4, 0xff800000
	.loc	1 29 30                         ; logsumexp_aot.py:29:30
	s_waitcnt lgkmcnt(0)
	v_cmp_gt_f32_e64 s[0:1], s0, v2
	s_nop 1
	v_cndmask_b32_e64 v3, 0, v3, s[0:1]
	s_and_b64 s[0:1], s[0:1], exec
	s_cselect_b32 s0, 32, 0
	v_ldexp_f32 v2, v2, s0
	v_log_f32_e32 v2, v2
	s_mov_b32 s0, 0x3f317217
	s_mov_b32 s1, 0x7f800000
	.loc	1 32 35                         ; logsumexp_aot.py:32:35
	s_ashr_i32 s13, s12, 31
	.loc	1 29 30                         ; logsumexp_aot.py:29:30
	v_mul_f32_e32 v5, 0x3f317217, v2
	v_fma_f32 v5, v2, s0, -v5
	v_fmamk_f32 v5, v2, 0x3377d1cf, v5
	v_fmac_f32_e32 v5, 0x3f317217, v2
	v_cmp_lt_f32_e64 s[0:1], |v2|, s1
	s_nop 1
	v_cndmask_b32_e64 v2, v2, v5, s[0:1]
	v_sub_f32_e32 v2, v2, v3
	.loc	1 32 35                         ; logsumexp_aot.py:32:35
	s_lshl_b64 s[0:1], s[12:13], 2
	.loc	1 29 23                         ; logsumexp_aot.py:29:23
	v_add_f32_e32 v0, v0, v2
	.loc	1 32 35                         ; logsumexp_aot.py:32:35
	s_add_u32 s0, s2, s0
	.loc	1 31 46                         ; logsumexp_aot.py:31:46
	v_cndmask_b32_e32 v0, v0, v4, vcc
	.loc	1 32 35                         ; logsumexp_aot.py:32:35
	s_addc_u32 s1, s3, s1
	.loc	1 33 30                         ; logsumexp_aot.py:33:30
	global_store_dword v1, v0, s[0:1]
.LBB0_22:
	.loc	1 18 4                          ; logsumexp_aot.py:18:4
	s_endpgm
.Ltmp42:
	.section	.rodata,"a",@progbits
	.p2align	6, 0x0
	.amdhsa_kernel logsumexp_kernel_inner
		.amdhsa_group_segment_fixed_size 0
		.amdhsa_private_segment_fixed_size 0
		.amdhsa_kernarg_size 40
		.amdhsa_user_sgpr_count 12
		.amdhsa_user_sgpr_dispatch_ptr 0
		.amdhsa_user_sgpr_queue_ptr 0
		.amdhsa_user_sgpr_kernarg_segment_ptr 1
		.amdhsa_user_sgpr_dispatch_id 0
		.amdhsa_user_sgpr_kernarg_preload_length 10
		.amdhsa_user_sgpr_kernarg_preload_offset 0
		.amdhsa_user_sgpr_private_segment_size 0
		.amdhsa_uses_dynamic_stack 0
		.amdhsa_enable_private_segment 0
		.amdhsa_system_sgpr_workgroup_id_x 1
		.amdhsa_system_sgpr_workgroup_id_y 0
		.amdhsa_system_sgpr_workgroup_id_z 0
		.amdhsa_system_sgpr_workgroup_info 0
		.amdhsa_system_vgpr_workitem_id 0
		.amdhsa_next_free_vgpr 10
		.amdhsa_next_free_sgpr 16
		.amdhsa_accum_offset 12
		.amdhsa_reserve_vcc 1
		.amdhsa_reserve_xnack_mask 1
		.amdhsa_float_round_mode_32 0
		.amdhsa_float_round_mode_16_64 0
		.amdhsa_float_denorm_mode_32 3
		.amdhsa_float_denorm_mode_16_64 3
		.amdhsa_dx10_clamp 1
		.amdhsa_ieee_mode 1
		.amdhsa_fp16_overflow 0
		.amdhsa_tg_split 0
		.amdhsa_exception_fp_ieee_invalid_op 0
		.amdhsa_exception_fp_denorm_src 0
		.amdhsa_exception_fp_ieee_div_zero 0
		.amdhsa_exception_fp_ieee_overflow 0
		.amdhsa_exception_fp_ieee_underflow 0
		.amdhsa_exception_fp_ieee_inexact 0
		.amdhsa_exception_int_div_zero 0
	.end_amdhsa_kernel
	.text
.Lfunc_end0:
	.size	logsumexp_kernel_inner, .Lfunc_end0-logsumexp_kernel_inner
	.cfi_endproc
                                        ; -- End function
	.set logsumexp_kernel_inner.num_vgpr, 10
	.set logsumexp_kernel_inner.num_agpr, 0
	.set logsumexp_kernel_inner.numbered_sgpr, 16
	.set logsumexp_kernel_inner.num_named_barrier, 0
	.set logsumexp_kernel_inner.private_seg_size, 0
	.set logsumexp_kernel_inner.uses_vcc, 1
	.set logsumexp_kernel_inner.uses_flat_scratch, 0
	.set logsumexp_kernel_inner.has_dyn_sized_stack, 0
	.set logsumexp_kernel_inner.has_recursion, 0
	.set logsumexp_kernel_inner.has_indirect_call, 0
	.section	.AMDGPU.csdata,"",@progbits
; Kernel info:
; codeLenInByte = 1544
; TotalNumSgprs: 22
; NumVgprs: 10
; NumAgprs: 0
; TotalNumVgprs: 10
; ScratchSize: 0
; MemoryBound: 0
; FloatMode: 240
; IeeeMode: 1
; LDSByteSize: 0 bytes/workgroup (compile time only)
; SGPRBlocks: 2
; VGPRBlocks: 1
; NumSGPRsForWavesPerEU: 22
; NumVGPRsForWavesPerEU: 10
; AccumOffset: 12
; Occupancy: 8
; WaveLimiterHint : 0
; COMPUTE_PGM_RSRC2:SCRATCH_EN: 0
; COMPUTE_PGM_RSRC2:USER_SGPR: 12
; COMPUTE_PGM_RSRC2:TRAP_HANDLER: 0
; COMPUTE_PGM_RSRC2:TGID_X_EN: 1
; COMPUTE_PGM_RSRC2:TGID_Y_EN: 0
; COMPUTE_PGM_RSRC2:TGID_Z_EN: 0
; COMPUTE_PGM_RSRC2:TIDIG_COMP_CNT: 0
; COMPUTE_PGM_RSRC3_GFX90A:ACCUM_OFFSET: 2
; COMPUTE_PGM_RSRC3_GFX90A:TG_SPLIT: 0
	.text
	.p2alignl 6, 3212836864
	.fill 256, 4, 3212836864
	.section	.AMDGPU.gpr_maximums,"",@progbits
	.set amdgpu.max_num_vgpr, 0
	.set amdgpu.max_num_agpr, 0
	.set amdgpu.max_num_sgpr, 0
	.set amdgpu.max_num_named_barrier, 0
	.text
	.section	.debug_abbrev,"",@progbits
	.byte	1                               ; Abbreviation Code
	.byte	17                              ; DW_TAG_compile_unit
	.byte	1                               ; DW_CHILDREN_yes
	.byte	37                              ; DW_AT_producer
	.byte	14                              ; DW_FORM_strp
	.byte	19                              ; DW_AT_language
	.byte	5                               ; DW_FORM_data2
	.byte	3                               ; DW_AT_name
	.byte	14                              ; DW_FORM_strp
	.byte	16                              ; DW_AT_stmt_list
	.byte	23                              ; DW_FORM_sec_offset
	.byte	27                              ; DW_AT_comp_dir
	.byte	14                              ; DW_FORM_strp
	.byte	17                              ; DW_AT_low_pc
	.byte	1                               ; DW_FORM_addr
	.byte	18                              ; DW_AT_high_pc
	.byte	6                               ; DW_FORM_data4
	.byte	0                               ; EOM(1)
	.byte	0                               ; EOM(2)
	.byte	2                               ; Abbreviation Code
	.byte	46                              ; DW_TAG_subprogram
	.byte	0                               ; DW_CHILDREN_no
	.byte	3                               ; DW_AT_name
	.byte	14                              ; DW_FORM_strp
	.byte	32                              ; DW_AT_inline
	.byte	11                              ; DW_FORM_data1
	.byte	0                               ; EOM(1)
	.byte	0                               ; EOM(2)
	.byte	3                               ; Abbreviation Code
	.byte	46                              ; DW_TAG_subprogram
	.byte	1                               ; DW_CHILDREN_yes
	.byte	17                              ; DW_AT_low_pc
	.byte	1                               ; DW_FORM_addr
	.byte	18                              ; DW_AT_high_pc
	.byte	6                               ; DW_FORM_data4
	.byte	49                              ; DW_AT_abstract_origin
	.byte	19                              ; DW_FORM_ref4
	.byte	0                               ; EOM(1)
	.byte	0                               ; EOM(2)
	.byte	4                               ; Abbreviation Code
	.byte	29                              ; DW_TAG_inlined_subroutine
	.byte	1                               ; DW_CHILDREN_yes
	.byte	49                              ; DW_AT_abstract_origin
	.byte	19                              ; DW_FORM_ref4
	.byte	85                              ; DW_AT_ranges
	.byte	23                              ; DW_FORM_sec_offset
	.byte	88                              ; DW_AT_call_file
	.byte	11                              ; DW_FORM_data1
	.byte	89                              ; DW_AT_call_line
	.byte	11                              ; DW_FORM_data1
	.byte	87                              ; DW_AT_call_column
	.byte	11                              ; DW_FORM_data1
	.byte	0                               ; EOM(1)
	.byte	0                               ; EOM(2)
	.byte	5                               ; Abbreviation Code
	.byte	29                              ; DW_TAG_inlined_subroutine
	.byte	0                               ; DW_CHILDREN_no
	.byte	49                              ; DW_AT_abstract_origin
	.byte	19                              ; DW_FORM_ref4
	.byte	85                              ; DW_AT_ranges
	.byte	23                              ; DW_FORM_sec_offset
	.byte	88                              ; DW_AT_call_file
	.byte	11                              ; DW_FORM_data1
	.byte	89                              ; DW_AT_call_line
	.byte	11                              ; DW_FORM_data1
	.byte	87                              ; DW_AT_call_column
	.byte	11                              ; DW_FORM_data1
	.byte	0                               ; EOM(1)
	.byte	0                               ; EOM(2)
	.byte	6                               ; Abbreviation Code
	.byte	29                              ; DW_TAG_inlined_subroutine
	.byte	0                               ; DW_CHILDREN_no
	.byte	49                              ; DW_AT_abstract_origin
	.byte	19                              ; DW_FORM_ref4
	.byte	85                              ; DW_AT_ranges
	.byte	23                              ; DW_FORM_sec_offset
	.byte	88                              ; DW_AT_call_file
	.byte	11                              ; DW_FORM_data1
	.byte	89                              ; DW_AT_call_line
	.byte	5                               ; DW_FORM_data2
	.byte	87                              ; DW_AT_call_column
	.byte	11                              ; DW_FORM_data1
	.byte	0                               ; EOM(1)
	.byte	0                               ; EOM(2)
	;; [unrolled: 1-line block ×3, first 2 shown]
	.section	.debug_info,"",@progbits
.Lcu_begin0:
	.long	.Ldebug_info_end0-.Ldebug_info_start0 ; Length of Unit
.Ldebug_info_start0:
	.short	4                               ; DWARF version number
	.long	.debug_abbrev                   ; Offset Into Abbrev. Section
	.byte	8                               ; Address Size (in bytes)
	.byte	1                               ; Abbrev [1] 0xb:0x6b DW_TAG_compile_unit
	.long	.Linfo_string0                  ; DW_AT_producer
	.short	2                               ; DW_AT_language
	.long	.Linfo_string1                  ; DW_AT_name
	.long	.Lline_table_start0             ; DW_AT_stmt_list
	.long	.Linfo_string2                  ; DW_AT_comp_dir
	.quad	.Lfunc_begin0                   ; DW_AT_low_pc
	.long	.Lfunc_end0-.Lfunc_begin0       ; DW_AT_high_pc
	.byte	2                               ; Abbrev [2] 0x2a:0x6 DW_TAG_subprogram
	.long	.Linfo_string3                  ; DW_AT_name
	.byte	1                               ; DW_AT_inline
	.byte	3                               ; Abbrev [3] 0x30:0x45 DW_TAG_subprogram
	.quad	.Lfunc_begin0                   ; DW_AT_low_pc
	.long	.Lfunc_end0-.Lfunc_begin0       ; DW_AT_high_pc
	.long	42                              ; DW_AT_abstract_origin
	.byte	4                               ; Abbrev [4] 0x41:0x19 DW_TAG_inlined_subroutine
	.long	42                              ; DW_AT_abstract_origin
	.long	.Ldebug_ranges0                 ; DW_AT_ranges
	.byte	1                               ; DW_AT_call_file
	.byte	24                              ; DW_AT_call_line
	.byte	19                              ; DW_AT_call_column
	.byte	5                               ; Abbrev [5] 0x4d:0xc DW_TAG_inlined_subroutine
	.long	42                              ; DW_AT_abstract_origin
	.long	.Ldebug_ranges1                 ; DW_AT_ranges
	.byte	2                               ; DW_AT_call_file
	.byte	191                             ; DW_AT_call_line
	.byte	40                              ; DW_AT_call_column
	.byte	0                               ; End Of Children Mark
	.byte	4                               ; Abbrev [4] 0x5a:0x1a DW_TAG_inlined_subroutine
	.long	42                              ; DW_AT_abstract_origin
	.long	.Ldebug_ranges2                 ; DW_AT_ranges
	.byte	1                               ; DW_AT_call_file
	.byte	28                              ; DW_AT_call_line
	.byte	19                              ; DW_AT_call_column
	.byte	6                               ; Abbrev [6] 0x66:0xd DW_TAG_inlined_subroutine
	.long	42                              ; DW_AT_abstract_origin
	.long	.Ldebug_ranges3                 ; DW_AT_ranges
	.byte	2                               ; DW_AT_call_file
	.short	293                             ; DW_AT_call_line
	.byte	36                              ; DW_AT_call_column
	.byte	0                               ; End Of Children Mark
	.byte	0                               ; End Of Children Mark
	;; [unrolled: 1-line block ×3, first 2 shown]
.Ldebug_info_end0:
	.section	.debug_ranges,"",@progbits
.Ldebug_ranges0:
	.quad	.Ltmp2-.Lfunc_begin0
	.quad	.Ltmp16-.Lfunc_begin0
	;; [unrolled: 1-line block ×4, first 2 shown]
	.quad	0
	.quad	0
.Ldebug_ranges1:
	.quad	.Ltmp2-.Lfunc_begin0
	.quad	.Ltmp3-.Lfunc_begin0
	.quad	.Ltmp4-.Lfunc_begin0
	.quad	.Ltmp5-.Lfunc_begin0
	.quad	.Ltmp6-.Lfunc_begin0
	.quad	.Ltmp7-.Lfunc_begin0
	.quad	.Ltmp8-.Lfunc_begin0
	.quad	.Ltmp9-.Lfunc_begin0
	.quad	.Ltmp10-.Lfunc_begin0
	.quad	.Ltmp11-.Lfunc_begin0
	.quad	.Ltmp12-.Lfunc_begin0
	.quad	.Ltmp13-.Lfunc_begin0
	.quad	.Ltmp14-.Lfunc_begin0
	.quad	.Ltmp15-.Lfunc_begin0
	.quad	.Ltmp18-.Lfunc_begin0
	.quad	.Ltmp19-.Lfunc_begin0
	.quad	.Ltmp20-.Lfunc_begin0
	.quad	.Ltmp21-.Lfunc_begin0
	.quad	0
	.quad	0
.Ldebug_ranges2:
	.quad	.Ltmp23-.Lfunc_begin0
	.quad	.Ltmp24-.Lfunc_begin0
	;; [unrolled: 1-line block ×14, first 2 shown]
	.quad	0
	.quad	0
.Ldebug_ranges3:
	.quad	.Ltmp27-.Lfunc_begin0
	.quad	.Ltmp28-.Lfunc_begin0
	;; [unrolled: 1-line block ×8, first 2 shown]
	.quad	0
	.quad	0
	.section	.debug_str,"MS",@progbits,1
.Linfo_string0:
	.asciz	"triton"                        ; string offset=0
.Linfo_string1:
	.asciz	"logsumexp_aot.py"              ; string offset=7
.Linfo_string2:
	.asciz	"/root/src/amdgpu-assembly/repos/FlagOpen__FlagGems/triton_aot_kernels" ; string offset=24
.Linfo_string3:
	.asciz	"logsumexp_kernel_inner"        ; string offset=94
	.section	".note.GNU-stack","",@progbits
	.amdgpu_metadata
---
amdhsa.kernels:
  - .agpr_count:     0
    .args:
      - .address_space:  global
        .offset:         0
        .size:           8
        .value_kind:     global_buffer
      - .address_space:  global
        .offset:         8
        .size:           8
        .value_kind:     global_buffer
      - .offset:         16
        .size:           4
        .value_kind:     by_value
      - .offset:         20
        .size:           4
        .value_kind:     by_value
      - .address_space:  global
        .offset:         24
        .size:           8
        .value_kind:     global_buffer
      - .address_space:  global
        .offset:         32
        .size:           8
        .value_kind:     global_buffer
    .group_segment_fixed_size: 0
    .kernarg_segment_align: 8
    .kernarg_segment_size: 40
    .max_flat_workgroup_size: 256
    .name:           logsumexp_kernel_inner
    .private_segment_fixed_size: 0
    .sgpr_count:     22
    .sgpr_spill_count: 0
    .symbol:         logsumexp_kernel_inner.kd
    .uniform_work_group_size: 1
    .uses_dynamic_stack: false
    .vgpr_count:     10
    .vgpr_spill_count: 0
    .wavefront_size: 64
amdhsa.target:   amdgcn-amd-amdhsa--gfx950
amdhsa.version:
  - 1
  - 2
...

	.end_amdgpu_metadata
	.section	.debug_line,"",@progbits
.Lline_table_start0:
